;; amdgpu-corpus repo=ggml-org/llama.cpp kind=compiled arch=gfx1100 opt=O3
	.text
	.amdgcn_target "amdgcn-amd-amdhsa--gfx1100"
	.amdhsa_code_object_version 6
	.section	.text._ZL12snake_kernelIfEvPKT_PKfS4_PS0_i15HIP_vector_typeIjLj3EE,"axG",@progbits,_ZL12snake_kernelIfEvPKT_PKfS4_PS0_i15HIP_vector_typeIjLj3EE,comdat
	.globl	_ZL12snake_kernelIfEvPKT_PKfS4_PS0_i15HIP_vector_typeIjLj3EE ; -- Begin function _ZL12snake_kernelIfEvPKT_PKfS4_PS0_i15HIP_vector_typeIjLj3EE
	.p2align	8
	.type	_ZL12snake_kernelIfEvPKT_PKfS4_PS0_i15HIP_vector_typeIjLj3EE,@function
_ZL12snake_kernelIfEvPKT_PKfS4_PS0_i15HIP_vector_typeIjLj3EE: ; @_ZL12snake_kernelIfEvPKT_PKfS4_PS0_i15HIP_vector_typeIjLj3EE
; %bb.0:
	s_clause 0x1
	s_load_b32 s2, s[0:1], 0x3c
	s_load_b32 s3, s[0:1], 0x20
	s_waitcnt lgkmcnt(0)
	s_and_b32 s2, s2, 0xffff
	s_delay_alu instid0(SALU_CYCLE_1) | instskip(SKIP_1) | instid1(VALU_DEP_1)
	v_mad_u64_u32 v[1:2], null, s15, s2, v[0:1]
	s_mov_b32 s2, exec_lo
	v_cmpx_gt_i32_e64 s3, v1
	s_cbranch_execz .LBB0_6
; %bb.1:
	s_clause 0x1
	s_load_b64 s[8:9], s[0:1], 0x24
	s_load_b256 s[0:7], s[0:1], 0x0
	v_ashrrev_i32_e32 v2, 31, v1
                                        ; implicit-def: $vgpr8
	s_waitcnt lgkmcnt(0)
	v_mul_hi_u32 v0, s8, v1
	s_delay_alu instid0(VALU_DEP_1) | instskip(NEXT) | instid1(VALU_DEP_1)
	v_add_nc_u32_e32 v0, v1, v0
	v_lshrrev_b32_e32 v3, s9, v0
	v_lshlrev_b64 v[0:1], 2, v[1:2]
	s_delay_alu instid0(VALU_DEP_2) | instskip(NEXT) | instid1(VALU_DEP_1)
	v_ashrrev_i32_e32 v4, 31, v3
	v_lshlrev_b64 v[2:3], 2, v[3:4]
	s_delay_alu instid0(VALU_DEP_3) | instskip(NEXT) | instid1(VALU_DEP_4)
	v_add_co_u32 v4, vcc_lo, s0, v0
	v_add_co_ci_u32_e32 v5, vcc_lo, s1, v1, vcc_lo
	s_mov_b32 s1, exec_lo
	s_delay_alu instid0(VALU_DEP_3) | instskip(NEXT) | instid1(VALU_DEP_4)
	v_add_co_u32 v6, vcc_lo, s2, v2
	v_add_co_ci_u32_e32 v7, vcc_lo, s3, v3, vcc_lo
	global_load_b32 v4, v[4:5], off
	global_load_b32 v5, v[6:7], off
                                        ; implicit-def: $vgpr7
	s_waitcnt vmcnt(0)
	v_mul_f32_e32 v5, v4, v5
	s_delay_alu instid0(VALU_DEP_1)
	v_and_b32_e32 v6, 0x7fffffff, v5
	v_cmpx_ngt_f32_e64 0x48000000, |v5|
	s_xor_b32 s3, exec_lo, s1
	s_cbranch_execz .LBB0_3
; %bb.2:
	s_mov_b32 s0, 0x7fffff
	v_mov_b32_e32 v9, 0
	v_and_or_b32 v17, v6, s0, 0x800000
	v_lshrrev_b32_e32 v14, 23, v6
	s_delay_alu instid0(VALU_DEP_2) | instskip(NEXT) | instid1(VALU_DEP_2)
	v_mad_u64_u32 v[7:8], null, 0xfe5163ab, v17, 0
	v_add_nc_u32_e32 v15, 0xffffff88, v14
	s_delay_alu instid0(VALU_DEP_1) | instskip(NEXT) | instid1(VALU_DEP_3)
	v_cmp_lt_u32_e32 vcc_lo, 63, v15
	v_mad_u64_u32 v[10:11], null, 0x3c439041, v17, v[8:9]
	v_cndmask_b32_e64 v16, 0, 0xffffffc0, vcc_lo
	s_delay_alu instid0(VALU_DEP_2) | instskip(NEXT) | instid1(VALU_DEP_2)
	v_mov_b32_e32 v8, v11
	v_add_nc_u32_e32 v16, v16, v15
	s_delay_alu instid0(VALU_DEP_2) | instskip(NEXT) | instid1(VALU_DEP_2)
	v_mad_u64_u32 v[11:12], null, 0xdb629599, v17, v[8:9]
	v_cmp_lt_u32_e64 s0, 31, v16
	s_delay_alu instid0(VALU_DEP_1) | instskip(NEXT) | instid1(VALU_DEP_3)
	v_cndmask_b32_e64 v18, 0, 0xffffffe0, s0
	v_dual_mov_b32 v8, v12 :: v_dual_cndmask_b32 v7, v11, v7
	s_delay_alu instid0(VALU_DEP_2) | instskip(NEXT) | instid1(VALU_DEP_2)
	v_add_nc_u32_e32 v18, v18, v16
	v_mad_u64_u32 v[12:13], null, 0xf534ddc0, v17, v[8:9]
	s_delay_alu instid0(VALU_DEP_2) | instskip(NEXT) | instid1(VALU_DEP_2)
	v_cmp_lt_u32_e64 s1, 31, v18
	v_mov_b32_e32 v8, v13
	s_delay_alu instid0(VALU_DEP_3) | instskip(NEXT) | instid1(VALU_DEP_2)
	v_cndmask_b32_e32 v10, v12, v10, vcc_lo
	v_mad_u64_u32 v[13:14], null, 0xfc2757d1, v17, v[8:9]
	s_delay_alu instid0(VALU_DEP_2) | instskip(NEXT) | instid1(VALU_DEP_2)
	v_cndmask_b32_e64 v7, v10, v7, s0
	v_mov_b32_e32 v8, v14
	s_delay_alu instid0(VALU_DEP_1) | instskip(NEXT) | instid1(VALU_DEP_1)
	v_mad_u64_u32 v[14:15], null, 0x4e441529, v17, v[8:9]
	v_mov_b32_e32 v8, v15
	s_delay_alu instid0(VALU_DEP_1) | instskip(SKIP_1) | instid1(VALU_DEP_1)
	v_mad_u64_u32 v[15:16], null, 0xa2f9836e, v17, v[8:9]
	v_cndmask_b32_e64 v8, 0, 0xffffffe0, s1
	v_dual_cndmask_b32 v9, v14, v12 :: v_dual_add_nc_u32 v8, v8, v18
	s_delay_alu instid0(VALU_DEP_3) | instskip(NEXT) | instid1(VALU_DEP_4)
	v_cndmask_b32_e32 v15, v15, v13, vcc_lo
	v_dual_cndmask_b32 v13, v13, v11 :: v_dual_cndmask_b32 v14, v16, v14
	s_delay_alu instid0(VALU_DEP_3) | instskip(NEXT) | instid1(VALU_DEP_3)
	v_cmp_eq_u32_e64 s2, 0, v8
	v_cndmask_b32_e64 v12, v15, v9, s0
	s_delay_alu instid0(VALU_DEP_3) | instskip(NEXT) | instid1(VALU_DEP_4)
	v_cndmask_b32_e64 v9, v9, v13, s0
	v_cndmask_b32_e64 v14, v14, v15, s0
	v_sub_nc_u32_e32 v15, 32, v8
	v_cndmask_b32_e64 v13, v13, v10, s0
	s_delay_alu instid0(VALU_DEP_3) | instskip(SKIP_1) | instid1(VALU_DEP_3)
	v_cndmask_b32_e64 v14, v14, v12, s1
	v_cndmask_b32_e64 v12, v12, v9, s1
	v_cndmask_b32_e64 v9, v9, v13, s1
	v_cndmask_b32_e64 v7, v13, v7, s1
	s_delay_alu instid0(VALU_DEP_3) | instskip(NEXT) | instid1(VALU_DEP_3)
	v_alignbit_b32 v16, v14, v12, v15
	v_alignbit_b32 v17, v12, v9, v15
	s_delay_alu instid0(VALU_DEP_3) | instskip(NEXT) | instid1(VALU_DEP_3)
	v_alignbit_b32 v15, v9, v7, v15
	v_cndmask_b32_e64 v8, v16, v14, s2
	s_delay_alu instid0(VALU_DEP_3) | instskip(NEXT) | instid1(VALU_DEP_3)
	v_cndmask_b32_e64 v11, v17, v12, s2
	v_cndmask_b32_e64 v9, v15, v9, s2
	s_delay_alu instid0(VALU_DEP_3) | instskip(NEXT) | instid1(VALU_DEP_3)
	v_bfe_u32 v12, v8, 29, 1
	v_alignbit_b32 v10, v8, v11, 30
	s_delay_alu instid0(VALU_DEP_3) | instskip(SKIP_1) | instid1(VALU_DEP_4)
	v_alignbit_b32 v11, v11, v9, 30
	v_alignbit_b32 v7, v9, v7, 30
	v_sub_nc_u32_e32 v14, 0, v12
	s_delay_alu instid0(VALU_DEP_1) | instskip(SKIP_3) | instid1(VALU_DEP_4)
	v_xor_b32_e32 v13, v10, v14
	v_cmp_ne_u32_e32 vcc_lo, v10, v14
	v_xor_b32_e32 v9, v11, v14
	v_xor_b32_e32 v7, v7, v14
	v_clz_i32_u32_e32 v16, v13
	s_delay_alu instid0(VALU_DEP_1) | instskip(NEXT) | instid1(VALU_DEP_1)
	v_add_nc_u32_e32 v15, 1, v16
	v_cndmask_b32_e32 v10, 33, v15, vcc_lo
	s_delay_alu instid0(VALU_DEP_1) | instskip(NEXT) | instid1(VALU_DEP_1)
	v_sub_nc_u32_e32 v11, 32, v10
	v_alignbit_b32 v13, v13, v9, v11
	v_alignbit_b32 v7, v9, v7, v11
	v_lshrrev_b32_e32 v9, 29, v8
	v_lshrrev_b32_e32 v8, 30, v8
	s_delay_alu instid0(VALU_DEP_3) | instskip(NEXT) | instid1(VALU_DEP_3)
	v_alignbit_b32 v11, v13, v7, 9
	v_lshlrev_b32_e32 v9, 31, v9
	v_alignbit_b32 v13, v10, v13, 9
	s_delay_alu instid0(VALU_DEP_4) | instskip(NEXT) | instid1(VALU_DEP_4)
	v_add_nc_u32_e32 v8, v12, v8
	v_clz_i32_u32_e32 v14, v11
	s_delay_alu instid0(VALU_DEP_3) | instskip(SKIP_1) | instid1(VALU_DEP_3)
	v_or_b32_e32 v13, v13, v9
	v_or_b32_e32 v9, 0x33800000, v9
	v_min_u32_e32 v14, 32, v14
	s_delay_alu instid0(VALU_DEP_3) | instskip(NEXT) | instid1(VALU_DEP_2)
	v_xor_b32_e32 v13, 1.0, v13
	v_sub_nc_u32_e32 v15, 31, v14
	v_add_lshl_u32 v10, v14, v10, 23
	s_delay_alu instid0(VALU_DEP_3) | instskip(NEXT) | instid1(VALU_DEP_3)
	v_mul_f32_e32 v14, 0x3fc90fda, v13
	v_alignbit_b32 v7, v11, v7, v15
	s_delay_alu instid0(VALU_DEP_3) | instskip(NEXT) | instid1(VALU_DEP_3)
	v_sub_nc_u32_e32 v9, v9, v10
	v_fma_f32 v10, 0x3fc90fda, v13, -v14
	s_delay_alu instid0(VALU_DEP_3) | instskip(NEXT) | instid1(VALU_DEP_2)
	v_lshrrev_b32_e32 v7, 9, v7
	v_fmamk_f32 v10, v13, 0x33a22168, v10
	s_delay_alu instid0(VALU_DEP_2) | instskip(NEXT) | instid1(VALU_DEP_1)
	v_or_b32_e32 v7, v9, v7
	v_fmac_f32_e32 v10, 0x3fc90fda, v7
	s_delay_alu instid0(VALU_DEP_1)
	v_add_f32_e32 v7, v14, v10
.LBB0_3:
	s_and_not1_saveexec_b32 s0, s3
; %bb.4:
	v_mul_f32_e64 v7, 0x3f22f983, |v5|
	s_delay_alu instid0(VALU_DEP_1) | instskip(NEXT) | instid1(VALU_DEP_1)
	v_rndne_f32_e32 v8, v7
	v_fma_f32 v7, 0xbfc90fda, v8, |v5|
	s_delay_alu instid0(VALU_DEP_1) | instskip(NEXT) | instid1(VALU_DEP_1)
	v_fmamk_f32 v7, v8, 0xb3a22168, v7
	v_fmamk_f32 v7, v8, 0xa7c234c4, v7
	v_cvt_i32_f32_e32 v8, v8
; %bb.5:
	s_or_b32 exec_lo, exec_lo, s0
	v_add_co_u32 v2, vcc_lo, s4, v2
	v_add_co_ci_u32_e32 v3, vcc_lo, s5, v3, vcc_lo
	s_mov_b32 s0, 0xb94c1982
	v_and_b32_e32 v11, 1, v8
	s_mov_b32 s1, 0x37d75334
	global_load_b32 v2, v[2:3], off
	v_dual_mul_f32 v3, v7, v7 :: v_dual_lshlrev_b32 v8, 30, v8
	v_cmp_eq_u32_e32 vcc_lo, 0, v11
	v_xor_b32_e32 v6, v6, v5
	s_delay_alu instid0(VALU_DEP_3) | instskip(NEXT) | instid1(VALU_DEP_4)
	v_fmaak_f32 v9, s0, v3, 0x3c0881c4
	v_and_b32_e32 v8, 0x80000000, v8
	s_delay_alu instid0(VALU_DEP_2) | instskip(NEXT) | instid1(VALU_DEP_1)
	v_fmaak_f32 v9, v3, v9, 0xbe2aaa9d
	v_dual_fmaak_f32 v10, s1, v3, 0xbab64f3b :: v_dual_mul_f32 v9, v3, v9
	s_delay_alu instid0(VALU_DEP_1) | instskip(NEXT) | instid1(VALU_DEP_2)
	v_fmaak_f32 v10, v3, v10, 0x3d2aabf7
	v_fmac_f32_e32 v7, v7, v9
	s_delay_alu instid0(VALU_DEP_2) | instskip(NEXT) | instid1(VALU_DEP_1)
	v_fmaak_f32 v10, v3, v10, 0xbf000004
	v_fma_f32 v3, v3, v10, 1.0
	s_delay_alu instid0(VALU_DEP_1) | instskip(SKIP_1) | instid1(VALU_DEP_2)
	v_cndmask_b32_e32 v3, v3, v7, vcc_lo
	v_cmp_class_f32_e64 vcc_lo, v5, 0x1f8
	v_xor3_b32 v3, v6, v8, v3
	s_delay_alu instid0(VALU_DEP_1) | instskip(SKIP_2) | instid1(VALU_DEP_3)
	v_cndmask_b32_e32 v3, 0x7fc00000, v3, vcc_lo
	v_add_co_u32 v0, vcc_lo, s6, v0
	v_add_co_ci_u32_e32 v1, vcc_lo, s7, v1, vcc_lo
	v_mul_f32_e32 v3, v3, v3
	s_waitcnt vmcnt(0)
	s_delay_alu instid0(VALU_DEP_1)
	v_fmac_f32_e32 v4, v2, v3
	global_store_b32 v[0:1], v4, off
.LBB0_6:
	s_nop 0
	s_sendmsg sendmsg(MSG_DEALLOC_VGPRS)
	s_endpgm
	.section	.rodata,"a",@progbits
	.p2align	6, 0x0
	.amdhsa_kernel _ZL12snake_kernelIfEvPKT_PKfS4_PS0_i15HIP_vector_typeIjLj3EE
		.amdhsa_group_segment_fixed_size 0
		.amdhsa_private_segment_fixed_size 0
		.amdhsa_kernarg_size 304
		.amdhsa_user_sgpr_count 15
		.amdhsa_user_sgpr_dispatch_ptr 0
		.amdhsa_user_sgpr_queue_ptr 0
		.amdhsa_user_sgpr_kernarg_segment_ptr 1
		.amdhsa_user_sgpr_dispatch_id 0
		.amdhsa_user_sgpr_private_segment_size 0
		.amdhsa_wavefront_size32 1
		.amdhsa_uses_dynamic_stack 0
		.amdhsa_enable_private_segment 0
		.amdhsa_system_sgpr_workgroup_id_x 1
		.amdhsa_system_sgpr_workgroup_id_y 0
		.amdhsa_system_sgpr_workgroup_id_z 0
		.amdhsa_system_sgpr_workgroup_info 0
		.amdhsa_system_vgpr_workitem_id 0
		.amdhsa_next_free_vgpr 19
		.amdhsa_next_free_sgpr 16
		.amdhsa_reserve_vcc 1
		.amdhsa_float_round_mode_32 0
		.amdhsa_float_round_mode_16_64 0
		.amdhsa_float_denorm_mode_32 3
		.amdhsa_float_denorm_mode_16_64 3
		.amdhsa_dx10_clamp 1
		.amdhsa_ieee_mode 1
		.amdhsa_fp16_overflow 0
		.amdhsa_workgroup_processor_mode 1
		.amdhsa_memory_ordered 1
		.amdhsa_forward_progress 0
		.amdhsa_shared_vgpr_count 0
		.amdhsa_exception_fp_ieee_invalid_op 0
		.amdhsa_exception_fp_denorm_src 0
		.amdhsa_exception_fp_ieee_div_zero 0
		.amdhsa_exception_fp_ieee_overflow 0
		.amdhsa_exception_fp_ieee_underflow 0
		.amdhsa_exception_fp_ieee_inexact 0
		.amdhsa_exception_int_div_zero 0
	.end_amdhsa_kernel
	.section	.text._ZL12snake_kernelIfEvPKT_PKfS4_PS0_i15HIP_vector_typeIjLj3EE,"axG",@progbits,_ZL12snake_kernelIfEvPKT_PKfS4_PS0_i15HIP_vector_typeIjLj3EE,comdat
.Lfunc_end0:
	.size	_ZL12snake_kernelIfEvPKT_PKfS4_PS0_i15HIP_vector_typeIjLj3EE, .Lfunc_end0-_ZL12snake_kernelIfEvPKT_PKfS4_PS0_i15HIP_vector_typeIjLj3EE
                                        ; -- End function
	.section	.AMDGPU.csdata,"",@progbits
; Kernel info:
; codeLenInByte = 1216
; NumSgprs: 18
; NumVgprs: 19
; ScratchSize: 0
; MemoryBound: 0
; FloatMode: 240
; IeeeMode: 1
; LDSByteSize: 0 bytes/workgroup (compile time only)
; SGPRBlocks: 2
; VGPRBlocks: 2
; NumSGPRsForWavesPerEU: 18
; NumVGPRsForWavesPerEU: 19
; Occupancy: 16
; WaveLimiterHint : 0
; COMPUTE_PGM_RSRC2:SCRATCH_EN: 0
; COMPUTE_PGM_RSRC2:USER_SGPR: 15
; COMPUTE_PGM_RSRC2:TRAP_HANDLER: 0
; COMPUTE_PGM_RSRC2:TGID_X_EN: 1
; COMPUTE_PGM_RSRC2:TGID_Y_EN: 0
; COMPUTE_PGM_RSRC2:TGID_Z_EN: 0
; COMPUTE_PGM_RSRC2:TIDIG_COMP_CNT: 0
	.section	.text._ZL12snake_kernelI6__halfEvPKT_PKfS5_PS1_i15HIP_vector_typeIjLj3EE,"axG",@progbits,_ZL12snake_kernelI6__halfEvPKT_PKfS5_PS1_i15HIP_vector_typeIjLj3EE,comdat
	.globl	_ZL12snake_kernelI6__halfEvPKT_PKfS5_PS1_i15HIP_vector_typeIjLj3EE ; -- Begin function _ZL12snake_kernelI6__halfEvPKT_PKfS5_PS1_i15HIP_vector_typeIjLj3EE
	.p2align	8
	.type	_ZL12snake_kernelI6__halfEvPKT_PKfS5_PS1_i15HIP_vector_typeIjLj3EE,@function
_ZL12snake_kernelI6__halfEvPKT_PKfS5_PS1_i15HIP_vector_typeIjLj3EE: ; @_ZL12snake_kernelI6__halfEvPKT_PKfS5_PS1_i15HIP_vector_typeIjLj3EE
; %bb.0:
	s_clause 0x1
	s_load_b32 s2, s[0:1], 0x3c
	s_load_b32 s3, s[0:1], 0x20
	s_waitcnt lgkmcnt(0)
	s_and_b32 s2, s2, 0xffff
	s_delay_alu instid0(SALU_CYCLE_1) | instskip(SKIP_1) | instid1(VALU_DEP_1)
	v_mad_u64_u32 v[1:2], null, s15, s2, v[0:1]
	s_mov_b32 s2, exec_lo
	v_cmpx_gt_i32_e64 s3, v1
	s_cbranch_execz .LBB1_6
; %bb.1:
	s_clause 0x1
	s_load_b64 s[8:9], s[0:1], 0x24
	s_load_b256 s[0:7], s[0:1], 0x0
	v_ashrrev_i32_e32 v2, 31, v1
                                        ; implicit-def: $vgpr8
                                        ; implicit-def: $vgpr7
	s_waitcnt lgkmcnt(0)
	v_mul_hi_u32 v0, s8, v1
	s_delay_alu instid0(VALU_DEP_1) | instskip(NEXT) | instid1(VALU_DEP_1)
	v_add_nc_u32_e32 v0, v1, v0
	v_lshrrev_b32_e32 v3, s9, v0
	v_lshlrev_b64 v[0:1], 1, v[1:2]
	s_delay_alu instid0(VALU_DEP_2) | instskip(NEXT) | instid1(VALU_DEP_2)
	v_ashrrev_i32_e32 v4, 31, v3
	v_add_co_u32 v5, vcc_lo, s0, v0
	s_delay_alu instid0(VALU_DEP_3) | instskip(NEXT) | instid1(VALU_DEP_3)
	v_add_co_ci_u32_e32 v6, vcc_lo, s1, v1, vcc_lo
	v_lshlrev_b64 v[2:3], 2, v[3:4]
	s_mov_b32 s1, exec_lo
	global_load_u16 v6, v[5:6], off
	v_add_co_u32 v4, vcc_lo, s2, v2
	v_add_co_ci_u32_e32 v5, vcc_lo, s3, v3, vcc_lo
	global_load_b32 v5, v[4:5], off
	s_waitcnt vmcnt(1)
	v_cvt_f32_f16_e32 v4, v6
	s_waitcnt vmcnt(0)
	s_delay_alu instid0(VALU_DEP_1) | instskip(NEXT) | instid1(VALU_DEP_1)
	v_mul_f32_e32 v5, v5, v4
	v_and_b32_e32 v6, 0x7fffffff, v5
	v_cmpx_ngt_f32_e64 0x48000000, |v5|
	s_xor_b32 s3, exec_lo, s1
	s_cbranch_execz .LBB1_3
; %bb.2:
	s_mov_b32 s0, 0x7fffff
	v_mov_b32_e32 v9, 0
	v_and_or_b32 v17, v6, s0, 0x800000
	v_lshrrev_b32_e32 v14, 23, v6
	s_delay_alu instid0(VALU_DEP_2) | instskip(NEXT) | instid1(VALU_DEP_2)
	v_mad_u64_u32 v[7:8], null, 0xfe5163ab, v17, 0
	v_add_nc_u32_e32 v15, 0xffffff88, v14
	s_delay_alu instid0(VALU_DEP_1) | instskip(NEXT) | instid1(VALU_DEP_3)
	v_cmp_lt_u32_e32 vcc_lo, 63, v15
	v_mad_u64_u32 v[10:11], null, 0x3c439041, v17, v[8:9]
	v_cndmask_b32_e64 v16, 0, 0xffffffc0, vcc_lo
	s_delay_alu instid0(VALU_DEP_2) | instskip(NEXT) | instid1(VALU_DEP_2)
	v_mov_b32_e32 v8, v11
	v_add_nc_u32_e32 v16, v16, v15
	s_delay_alu instid0(VALU_DEP_2) | instskip(NEXT) | instid1(VALU_DEP_2)
	v_mad_u64_u32 v[11:12], null, 0xdb629599, v17, v[8:9]
	v_cmp_lt_u32_e64 s0, 31, v16
	s_delay_alu instid0(VALU_DEP_1) | instskip(NEXT) | instid1(VALU_DEP_3)
	v_cndmask_b32_e64 v18, 0, 0xffffffe0, s0
	v_dual_mov_b32 v8, v12 :: v_dual_cndmask_b32 v7, v11, v7
	s_delay_alu instid0(VALU_DEP_2) | instskip(NEXT) | instid1(VALU_DEP_2)
	v_add_nc_u32_e32 v18, v18, v16
	v_mad_u64_u32 v[12:13], null, 0xf534ddc0, v17, v[8:9]
	s_delay_alu instid0(VALU_DEP_2) | instskip(NEXT) | instid1(VALU_DEP_2)
	v_cmp_lt_u32_e64 s1, 31, v18
	v_mov_b32_e32 v8, v13
	s_delay_alu instid0(VALU_DEP_3) | instskip(NEXT) | instid1(VALU_DEP_2)
	v_cndmask_b32_e32 v10, v12, v10, vcc_lo
	v_mad_u64_u32 v[13:14], null, 0xfc2757d1, v17, v[8:9]
	s_delay_alu instid0(VALU_DEP_2) | instskip(NEXT) | instid1(VALU_DEP_2)
	v_cndmask_b32_e64 v7, v10, v7, s0
	v_mov_b32_e32 v8, v14
	s_delay_alu instid0(VALU_DEP_1) | instskip(NEXT) | instid1(VALU_DEP_1)
	v_mad_u64_u32 v[14:15], null, 0x4e441529, v17, v[8:9]
	v_mov_b32_e32 v8, v15
	s_delay_alu instid0(VALU_DEP_1) | instskip(SKIP_1) | instid1(VALU_DEP_1)
	v_mad_u64_u32 v[15:16], null, 0xa2f9836e, v17, v[8:9]
	v_cndmask_b32_e64 v8, 0, 0xffffffe0, s1
	v_dual_cndmask_b32 v9, v14, v12 :: v_dual_add_nc_u32 v8, v8, v18
	s_delay_alu instid0(VALU_DEP_3) | instskip(NEXT) | instid1(VALU_DEP_4)
	v_cndmask_b32_e32 v15, v15, v13, vcc_lo
	v_dual_cndmask_b32 v13, v13, v11 :: v_dual_cndmask_b32 v14, v16, v14
	s_delay_alu instid0(VALU_DEP_3) | instskip(NEXT) | instid1(VALU_DEP_3)
	v_cmp_eq_u32_e64 s2, 0, v8
	v_cndmask_b32_e64 v12, v15, v9, s0
	s_delay_alu instid0(VALU_DEP_3) | instskip(NEXT) | instid1(VALU_DEP_4)
	v_cndmask_b32_e64 v9, v9, v13, s0
	v_cndmask_b32_e64 v14, v14, v15, s0
	v_sub_nc_u32_e32 v15, 32, v8
	v_cndmask_b32_e64 v13, v13, v10, s0
	s_delay_alu instid0(VALU_DEP_3) | instskip(SKIP_1) | instid1(VALU_DEP_3)
	v_cndmask_b32_e64 v14, v14, v12, s1
	v_cndmask_b32_e64 v12, v12, v9, s1
	;; [unrolled: 1-line block ×4, first 2 shown]
	s_delay_alu instid0(VALU_DEP_3) | instskip(NEXT) | instid1(VALU_DEP_3)
	v_alignbit_b32 v16, v14, v12, v15
	v_alignbit_b32 v17, v12, v9, v15
	s_delay_alu instid0(VALU_DEP_3) | instskip(NEXT) | instid1(VALU_DEP_3)
	v_alignbit_b32 v15, v9, v7, v15
	v_cndmask_b32_e64 v8, v16, v14, s2
	s_delay_alu instid0(VALU_DEP_3) | instskip(NEXT) | instid1(VALU_DEP_3)
	v_cndmask_b32_e64 v11, v17, v12, s2
	v_cndmask_b32_e64 v9, v15, v9, s2
	s_delay_alu instid0(VALU_DEP_3) | instskip(NEXT) | instid1(VALU_DEP_3)
	v_bfe_u32 v12, v8, 29, 1
	v_alignbit_b32 v10, v8, v11, 30
	s_delay_alu instid0(VALU_DEP_3) | instskip(SKIP_1) | instid1(VALU_DEP_4)
	v_alignbit_b32 v11, v11, v9, 30
	v_alignbit_b32 v7, v9, v7, 30
	v_sub_nc_u32_e32 v14, 0, v12
	s_delay_alu instid0(VALU_DEP_1) | instskip(SKIP_3) | instid1(VALU_DEP_4)
	v_xor_b32_e32 v13, v10, v14
	v_cmp_ne_u32_e32 vcc_lo, v10, v14
	v_xor_b32_e32 v9, v11, v14
	v_xor_b32_e32 v7, v7, v14
	v_clz_i32_u32_e32 v16, v13
	s_delay_alu instid0(VALU_DEP_1) | instskip(NEXT) | instid1(VALU_DEP_1)
	v_add_nc_u32_e32 v15, 1, v16
	v_cndmask_b32_e32 v10, 33, v15, vcc_lo
	s_delay_alu instid0(VALU_DEP_1) | instskip(NEXT) | instid1(VALU_DEP_1)
	v_sub_nc_u32_e32 v11, 32, v10
	v_alignbit_b32 v13, v13, v9, v11
	v_alignbit_b32 v7, v9, v7, v11
	v_lshrrev_b32_e32 v9, 29, v8
	v_lshrrev_b32_e32 v8, 30, v8
	s_delay_alu instid0(VALU_DEP_3) | instskip(NEXT) | instid1(VALU_DEP_3)
	v_alignbit_b32 v11, v13, v7, 9
	v_lshlrev_b32_e32 v9, 31, v9
	v_alignbit_b32 v13, v10, v13, 9
	s_delay_alu instid0(VALU_DEP_4) | instskip(NEXT) | instid1(VALU_DEP_4)
	v_add_nc_u32_e32 v8, v12, v8
	v_clz_i32_u32_e32 v14, v11
	s_delay_alu instid0(VALU_DEP_3) | instskip(SKIP_1) | instid1(VALU_DEP_3)
	v_or_b32_e32 v13, v13, v9
	v_or_b32_e32 v9, 0x33800000, v9
	v_min_u32_e32 v14, 32, v14
	s_delay_alu instid0(VALU_DEP_3) | instskip(NEXT) | instid1(VALU_DEP_2)
	v_xor_b32_e32 v13, 1.0, v13
	v_sub_nc_u32_e32 v15, 31, v14
	v_add_lshl_u32 v10, v14, v10, 23
	s_delay_alu instid0(VALU_DEP_3) | instskip(NEXT) | instid1(VALU_DEP_3)
	v_mul_f32_e32 v14, 0x3fc90fda, v13
	v_alignbit_b32 v7, v11, v7, v15
	s_delay_alu instid0(VALU_DEP_3) | instskip(NEXT) | instid1(VALU_DEP_3)
	v_sub_nc_u32_e32 v9, v9, v10
	v_fma_f32 v10, 0x3fc90fda, v13, -v14
	s_delay_alu instid0(VALU_DEP_3) | instskip(NEXT) | instid1(VALU_DEP_2)
	v_lshrrev_b32_e32 v7, 9, v7
	v_fmamk_f32 v10, v13, 0x33a22168, v10
	s_delay_alu instid0(VALU_DEP_2) | instskip(NEXT) | instid1(VALU_DEP_1)
	v_or_b32_e32 v7, v9, v7
	v_fmac_f32_e32 v10, 0x3fc90fda, v7
	s_delay_alu instid0(VALU_DEP_1)
	v_add_f32_e32 v7, v14, v10
.LBB1_3:
	s_and_not1_saveexec_b32 s0, s3
; %bb.4:
	v_mul_f32_e64 v7, 0x3f22f983, |v5|
	s_delay_alu instid0(VALU_DEP_1) | instskip(NEXT) | instid1(VALU_DEP_1)
	v_rndne_f32_e32 v8, v7
	v_fma_f32 v7, 0xbfc90fda, v8, |v5|
	s_delay_alu instid0(VALU_DEP_1) | instskip(NEXT) | instid1(VALU_DEP_1)
	v_fmamk_f32 v7, v8, 0xb3a22168, v7
	v_fmamk_f32 v7, v8, 0xa7c234c4, v7
	v_cvt_i32_f32_e32 v8, v8
; %bb.5:
	s_or_b32 exec_lo, exec_lo, s0
	v_add_co_u32 v2, vcc_lo, s4, v2
	v_add_co_ci_u32_e32 v3, vcc_lo, s5, v3, vcc_lo
	s_mov_b32 s0, 0xb94c1982
	v_and_b32_e32 v11, 1, v8
	s_mov_b32 s1, 0x37d75334
	global_load_b32 v2, v[2:3], off
	v_dual_mul_f32 v3, v7, v7 :: v_dual_lshlrev_b32 v8, 30, v8
	v_cmp_eq_u32_e32 vcc_lo, 0, v11
	v_xor_b32_e32 v6, v6, v5
	s_delay_alu instid0(VALU_DEP_3) | instskip(NEXT) | instid1(VALU_DEP_4)
	v_fmaak_f32 v9, s0, v3, 0x3c0881c4
	v_and_b32_e32 v8, 0x80000000, v8
	s_delay_alu instid0(VALU_DEP_2) | instskip(NEXT) | instid1(VALU_DEP_1)
	v_fmaak_f32 v9, v3, v9, 0xbe2aaa9d
	v_dual_fmaak_f32 v10, s1, v3, 0xbab64f3b :: v_dual_mul_f32 v9, v3, v9
	s_delay_alu instid0(VALU_DEP_1) | instskip(NEXT) | instid1(VALU_DEP_2)
	v_fmaak_f32 v10, v3, v10, 0x3d2aabf7
	v_fmac_f32_e32 v7, v7, v9
	s_delay_alu instid0(VALU_DEP_2) | instskip(NEXT) | instid1(VALU_DEP_1)
	v_fmaak_f32 v10, v3, v10, 0xbf000004
	v_fma_f32 v3, v3, v10, 1.0
	s_delay_alu instid0(VALU_DEP_1) | instskip(SKIP_1) | instid1(VALU_DEP_2)
	v_cndmask_b32_e32 v3, v3, v7, vcc_lo
	v_cmp_class_f32_e64 vcc_lo, v5, 0x1f8
	v_xor3_b32 v3, v6, v8, v3
	s_delay_alu instid0(VALU_DEP_1) | instskip(SKIP_2) | instid1(VALU_DEP_3)
	v_cndmask_b32_e32 v3, 0x7fc00000, v3, vcc_lo
	v_add_co_u32 v0, vcc_lo, s6, v0
	v_add_co_ci_u32_e32 v1, vcc_lo, s7, v1, vcc_lo
	v_mul_f32_e32 v3, v3, v3
	s_waitcnt vmcnt(0)
	s_delay_alu instid0(VALU_DEP_1)
	v_fma_mixlo_f16 v2, v2, v3, v4
	global_store_b16 v[0:1], v2, off
.LBB1_6:
	s_nop 0
	s_sendmsg sendmsg(MSG_DEALLOC_VGPRS)
	s_endpgm
	.section	.rodata,"a",@progbits
	.p2align	6, 0x0
	.amdhsa_kernel _ZL12snake_kernelI6__halfEvPKT_PKfS5_PS1_i15HIP_vector_typeIjLj3EE
		.amdhsa_group_segment_fixed_size 0
		.amdhsa_private_segment_fixed_size 0
		.amdhsa_kernarg_size 304
		.amdhsa_user_sgpr_count 15
		.amdhsa_user_sgpr_dispatch_ptr 0
		.amdhsa_user_sgpr_queue_ptr 0
		.amdhsa_user_sgpr_kernarg_segment_ptr 1
		.amdhsa_user_sgpr_dispatch_id 0
		.amdhsa_user_sgpr_private_segment_size 0
		.amdhsa_wavefront_size32 1
		.amdhsa_uses_dynamic_stack 0
		.amdhsa_enable_private_segment 0
		.amdhsa_system_sgpr_workgroup_id_x 1
		.amdhsa_system_sgpr_workgroup_id_y 0
		.amdhsa_system_sgpr_workgroup_id_z 0
		.amdhsa_system_sgpr_workgroup_info 0
		.amdhsa_system_vgpr_workitem_id 0
		.amdhsa_next_free_vgpr 19
		.amdhsa_next_free_sgpr 16
		.amdhsa_reserve_vcc 1
		.amdhsa_float_round_mode_32 0
		.amdhsa_float_round_mode_16_64 0
		.amdhsa_float_denorm_mode_32 3
		.amdhsa_float_denorm_mode_16_64 3
		.amdhsa_dx10_clamp 1
		.amdhsa_ieee_mode 1
		.amdhsa_fp16_overflow 0
		.amdhsa_workgroup_processor_mode 1
		.amdhsa_memory_ordered 1
		.amdhsa_forward_progress 0
		.amdhsa_shared_vgpr_count 0
		.amdhsa_exception_fp_ieee_invalid_op 0
		.amdhsa_exception_fp_denorm_src 0
		.amdhsa_exception_fp_ieee_div_zero 0
		.amdhsa_exception_fp_ieee_overflow 0
		.amdhsa_exception_fp_ieee_underflow 0
		.amdhsa_exception_fp_ieee_inexact 0
		.amdhsa_exception_int_div_zero 0
	.end_amdhsa_kernel
	.section	.text._ZL12snake_kernelI6__halfEvPKT_PKfS5_PS1_i15HIP_vector_typeIjLj3EE,"axG",@progbits,_ZL12snake_kernelI6__halfEvPKT_PKfS5_PS1_i15HIP_vector_typeIjLj3EE,comdat
.Lfunc_end1:
	.size	_ZL12snake_kernelI6__halfEvPKT_PKfS5_PS1_i15HIP_vector_typeIjLj3EE, .Lfunc_end1-_ZL12snake_kernelI6__halfEvPKT_PKfS5_PS1_i15HIP_vector_typeIjLj3EE
                                        ; -- End function
	.section	.AMDGPU.csdata,"",@progbits
; Kernel info:
; codeLenInByte = 1224
; NumSgprs: 18
; NumVgprs: 19
; ScratchSize: 0
; MemoryBound: 0
; FloatMode: 240
; IeeeMode: 1
; LDSByteSize: 0 bytes/workgroup (compile time only)
; SGPRBlocks: 2
; VGPRBlocks: 2
; NumSGPRsForWavesPerEU: 18
; NumVGPRsForWavesPerEU: 19
; Occupancy: 16
; WaveLimiterHint : 0
; COMPUTE_PGM_RSRC2:SCRATCH_EN: 0
; COMPUTE_PGM_RSRC2:USER_SGPR: 15
; COMPUTE_PGM_RSRC2:TRAP_HANDLER: 0
; COMPUTE_PGM_RSRC2:TGID_X_EN: 1
; COMPUTE_PGM_RSRC2:TGID_Y_EN: 0
; COMPUTE_PGM_RSRC2:TGID_Z_EN: 0
; COMPUTE_PGM_RSRC2:TIDIG_COMP_CNT: 0
	.section	.text._ZL12snake_kernelI14__hip_bfloat16EvPKT_PKfS5_PS1_i15HIP_vector_typeIjLj3EE,"axG",@progbits,_ZL12snake_kernelI14__hip_bfloat16EvPKT_PKfS5_PS1_i15HIP_vector_typeIjLj3EE,comdat
	.globl	_ZL12snake_kernelI14__hip_bfloat16EvPKT_PKfS5_PS1_i15HIP_vector_typeIjLj3EE ; -- Begin function _ZL12snake_kernelI14__hip_bfloat16EvPKT_PKfS5_PS1_i15HIP_vector_typeIjLj3EE
	.p2align	8
	.type	_ZL12snake_kernelI14__hip_bfloat16EvPKT_PKfS5_PS1_i15HIP_vector_typeIjLj3EE,@function
_ZL12snake_kernelI14__hip_bfloat16EvPKT_PKfS5_PS1_i15HIP_vector_typeIjLj3EE: ; @_ZL12snake_kernelI14__hip_bfloat16EvPKT_PKfS5_PS1_i15HIP_vector_typeIjLj3EE
; %bb.0:
	s_clause 0x1
	s_load_b32 s2, s[0:1], 0x3c
	s_load_b32 s3, s[0:1], 0x20
	s_waitcnt lgkmcnt(0)
	s_and_b32 s2, s2, 0xffff
	s_delay_alu instid0(SALU_CYCLE_1) | instskip(SKIP_1) | instid1(VALU_DEP_1)
	v_mad_u64_u32 v[1:2], null, s15, s2, v[0:1]
	s_mov_b32 s2, exec_lo
	v_cmpx_gt_i32_e64 s3, v1
	s_cbranch_execz .LBB2_10
; %bb.1:
	s_clause 0x2
	s_load_b64 s[2:3], s[0:1], 0x24
	s_load_b128 s[8:11], s[0:1], 0x0
	s_load_b64 s[6:7], s[0:1], 0x10
	v_ashrrev_i32_e32 v2, 31, v1
                                        ; implicit-def: $vgpr8
                                        ; implicit-def: $vgpr7
	s_waitcnt lgkmcnt(0)
	v_mul_hi_u32 v0, s2, v1
	s_delay_alu instid0(VALU_DEP_1) | instskip(NEXT) | instid1(VALU_DEP_1)
	v_add_nc_u32_e32 v0, v1, v0
	v_lshrrev_b32_e32 v3, s3, v0
	v_lshlrev_b64 v[0:1], 1, v[1:2]
	s_mov_b32 s3, exec_lo
	s_delay_alu instid0(VALU_DEP_2) | instskip(NEXT) | instid1(VALU_DEP_2)
	v_ashrrev_i32_e32 v4, 31, v3
	v_add_co_u32 v5, vcc_lo, s8, v0
	s_delay_alu instid0(VALU_DEP_3) | instskip(NEXT) | instid1(VALU_DEP_3)
	v_add_co_ci_u32_e32 v6, vcc_lo, s9, v1, vcc_lo
	v_lshlrev_b64 v[2:3], 2, v[3:4]
	global_load_u16 v6, v[5:6], off
	v_add_co_u32 v4, vcc_lo, s10, v2
	v_add_co_ci_u32_e32 v5, vcc_lo, s11, v3, vcc_lo
	global_load_b32 v5, v[4:5], off
	s_waitcnt vmcnt(1)
	v_lshlrev_b32_e32 v4, 16, v6
	s_waitcnt vmcnt(0)
	s_delay_alu instid0(VALU_DEP_1) | instskip(NEXT) | instid1(VALU_DEP_1)
	v_mul_f32_e32 v5, v5, v4
	v_and_b32_e32 v6, 0x7fffffff, v5
	v_cmpx_ngt_f32_e64 0x48000000, |v5|
	s_xor_b32 s5, exec_lo, s3
	s_cbranch_execz .LBB2_3
; %bb.2:
	s_mov_b32 s2, 0x7fffff
	v_mov_b32_e32 v9, 0
	v_and_or_b32 v17, v6, s2, 0x800000
	v_lshrrev_b32_e32 v14, 23, v6
	s_delay_alu instid0(VALU_DEP_2) | instskip(NEXT) | instid1(VALU_DEP_2)
	v_mad_u64_u32 v[7:8], null, 0xfe5163ab, v17, 0
	v_add_nc_u32_e32 v15, 0xffffff88, v14
	s_delay_alu instid0(VALU_DEP_1) | instskip(NEXT) | instid1(VALU_DEP_3)
	v_cmp_lt_u32_e32 vcc_lo, 63, v15
	v_mad_u64_u32 v[10:11], null, 0x3c439041, v17, v[8:9]
	v_cndmask_b32_e64 v16, 0, 0xffffffc0, vcc_lo
	s_delay_alu instid0(VALU_DEP_2) | instskip(NEXT) | instid1(VALU_DEP_2)
	v_mov_b32_e32 v8, v11
	v_add_nc_u32_e32 v16, v16, v15
	s_delay_alu instid0(VALU_DEP_2) | instskip(NEXT) | instid1(VALU_DEP_2)
	v_mad_u64_u32 v[11:12], null, 0xdb629599, v17, v[8:9]
	v_cmp_lt_u32_e64 s2, 31, v16
	s_delay_alu instid0(VALU_DEP_1) | instskip(NEXT) | instid1(VALU_DEP_3)
	v_cndmask_b32_e64 v18, 0, 0xffffffe0, s2
	v_dual_mov_b32 v8, v12 :: v_dual_cndmask_b32 v7, v11, v7
	s_delay_alu instid0(VALU_DEP_2) | instskip(NEXT) | instid1(VALU_DEP_2)
	v_add_nc_u32_e32 v18, v18, v16
	v_mad_u64_u32 v[12:13], null, 0xf534ddc0, v17, v[8:9]
	s_delay_alu instid0(VALU_DEP_2) | instskip(NEXT) | instid1(VALU_DEP_2)
	v_cmp_lt_u32_e64 s3, 31, v18
	v_mov_b32_e32 v8, v13
	s_delay_alu instid0(VALU_DEP_3) | instskip(NEXT) | instid1(VALU_DEP_2)
	v_cndmask_b32_e32 v10, v12, v10, vcc_lo
	v_mad_u64_u32 v[13:14], null, 0xfc2757d1, v17, v[8:9]
	s_delay_alu instid0(VALU_DEP_2) | instskip(NEXT) | instid1(VALU_DEP_2)
	v_cndmask_b32_e64 v7, v10, v7, s2
	v_mov_b32_e32 v8, v14
	s_delay_alu instid0(VALU_DEP_1) | instskip(NEXT) | instid1(VALU_DEP_1)
	v_mad_u64_u32 v[14:15], null, 0x4e441529, v17, v[8:9]
	v_mov_b32_e32 v8, v15
	s_delay_alu instid0(VALU_DEP_1) | instskip(SKIP_1) | instid1(VALU_DEP_1)
	v_mad_u64_u32 v[15:16], null, 0xa2f9836e, v17, v[8:9]
	v_cndmask_b32_e64 v8, 0, 0xffffffe0, s3
	v_dual_cndmask_b32 v9, v14, v12 :: v_dual_add_nc_u32 v8, v8, v18
	s_delay_alu instid0(VALU_DEP_3) | instskip(NEXT) | instid1(VALU_DEP_4)
	v_cndmask_b32_e32 v15, v15, v13, vcc_lo
	v_dual_cndmask_b32 v13, v13, v11 :: v_dual_cndmask_b32 v14, v16, v14
	s_delay_alu instid0(VALU_DEP_3) | instskip(NEXT) | instid1(VALU_DEP_3)
	v_cmp_eq_u32_e64 s4, 0, v8
	v_cndmask_b32_e64 v12, v15, v9, s2
	s_delay_alu instid0(VALU_DEP_3) | instskip(NEXT) | instid1(VALU_DEP_4)
	v_cndmask_b32_e64 v9, v9, v13, s2
	v_cndmask_b32_e64 v14, v14, v15, s2
	v_sub_nc_u32_e32 v15, 32, v8
	v_cndmask_b32_e64 v13, v13, v10, s2
	s_delay_alu instid0(VALU_DEP_3) | instskip(SKIP_1) | instid1(VALU_DEP_3)
	v_cndmask_b32_e64 v14, v14, v12, s3
	v_cndmask_b32_e64 v12, v12, v9, s3
	;; [unrolled: 1-line block ×4, first 2 shown]
	s_delay_alu instid0(VALU_DEP_3) | instskip(NEXT) | instid1(VALU_DEP_3)
	v_alignbit_b32 v16, v14, v12, v15
	v_alignbit_b32 v17, v12, v9, v15
	s_delay_alu instid0(VALU_DEP_3) | instskip(NEXT) | instid1(VALU_DEP_3)
	v_alignbit_b32 v15, v9, v7, v15
	v_cndmask_b32_e64 v8, v16, v14, s4
	s_delay_alu instid0(VALU_DEP_3) | instskip(NEXT) | instid1(VALU_DEP_3)
	v_cndmask_b32_e64 v11, v17, v12, s4
	v_cndmask_b32_e64 v9, v15, v9, s4
	s_delay_alu instid0(VALU_DEP_3) | instskip(NEXT) | instid1(VALU_DEP_3)
	v_bfe_u32 v12, v8, 29, 1
	v_alignbit_b32 v10, v8, v11, 30
	s_delay_alu instid0(VALU_DEP_3) | instskip(SKIP_1) | instid1(VALU_DEP_4)
	v_alignbit_b32 v11, v11, v9, 30
	v_alignbit_b32 v7, v9, v7, 30
	v_sub_nc_u32_e32 v14, 0, v12
	s_delay_alu instid0(VALU_DEP_1) | instskip(SKIP_3) | instid1(VALU_DEP_4)
	v_xor_b32_e32 v13, v10, v14
	v_cmp_ne_u32_e32 vcc_lo, v10, v14
	v_xor_b32_e32 v9, v11, v14
	v_xor_b32_e32 v7, v7, v14
	v_clz_i32_u32_e32 v16, v13
	s_delay_alu instid0(VALU_DEP_1) | instskip(NEXT) | instid1(VALU_DEP_1)
	v_add_nc_u32_e32 v15, 1, v16
	v_cndmask_b32_e32 v10, 33, v15, vcc_lo
	s_delay_alu instid0(VALU_DEP_1) | instskip(NEXT) | instid1(VALU_DEP_1)
	v_sub_nc_u32_e32 v11, 32, v10
	v_alignbit_b32 v13, v13, v9, v11
	v_alignbit_b32 v7, v9, v7, v11
	v_lshrrev_b32_e32 v9, 29, v8
	v_lshrrev_b32_e32 v8, 30, v8
	s_delay_alu instid0(VALU_DEP_3) | instskip(NEXT) | instid1(VALU_DEP_3)
	v_alignbit_b32 v11, v13, v7, 9
	v_lshlrev_b32_e32 v9, 31, v9
	v_alignbit_b32 v13, v10, v13, 9
	s_delay_alu instid0(VALU_DEP_4) | instskip(NEXT) | instid1(VALU_DEP_4)
	v_add_nc_u32_e32 v8, v12, v8
	v_clz_i32_u32_e32 v14, v11
	s_delay_alu instid0(VALU_DEP_3) | instskip(SKIP_1) | instid1(VALU_DEP_3)
	v_or_b32_e32 v13, v13, v9
	v_or_b32_e32 v9, 0x33800000, v9
	v_min_u32_e32 v14, 32, v14
	s_delay_alu instid0(VALU_DEP_3) | instskip(NEXT) | instid1(VALU_DEP_2)
	v_xor_b32_e32 v13, 1.0, v13
	v_sub_nc_u32_e32 v15, 31, v14
	v_add_lshl_u32 v10, v14, v10, 23
	s_delay_alu instid0(VALU_DEP_3) | instskip(NEXT) | instid1(VALU_DEP_3)
	v_mul_f32_e32 v14, 0x3fc90fda, v13
	v_alignbit_b32 v7, v11, v7, v15
	s_delay_alu instid0(VALU_DEP_3) | instskip(NEXT) | instid1(VALU_DEP_3)
	v_sub_nc_u32_e32 v9, v9, v10
	v_fma_f32 v10, 0x3fc90fda, v13, -v14
	s_delay_alu instid0(VALU_DEP_3) | instskip(NEXT) | instid1(VALU_DEP_2)
	v_lshrrev_b32_e32 v7, 9, v7
	v_fmamk_f32 v10, v13, 0x33a22168, v10
	s_delay_alu instid0(VALU_DEP_2) | instskip(NEXT) | instid1(VALU_DEP_1)
	v_or_b32_e32 v7, v9, v7
	v_fmac_f32_e32 v10, 0x3fc90fda, v7
	s_delay_alu instid0(VALU_DEP_1)
	v_add_f32_e32 v7, v14, v10
.LBB2_3:
	s_and_not1_saveexec_b32 s2, s5
; %bb.4:
	v_mul_f32_e64 v7, 0x3f22f983, |v5|
	s_delay_alu instid0(VALU_DEP_1) | instskip(NEXT) | instid1(VALU_DEP_1)
	v_rndne_f32_e32 v8, v7
	v_fma_f32 v7, 0xbfc90fda, v8, |v5|
	s_delay_alu instid0(VALU_DEP_1) | instskip(NEXT) | instid1(VALU_DEP_1)
	v_fmamk_f32 v7, v8, 0xb3a22168, v7
	v_fmamk_f32 v7, v8, 0xa7c234c4, v7
	v_cvt_i32_f32_e32 v8, v8
; %bb.5:
	s_or_b32 exec_lo, exec_lo, s2
	v_add_co_u32 v2, vcc_lo, s6, v2
	v_add_co_ci_u32_e32 v3, vcc_lo, s7, v3, vcc_lo
	s_mov_b32 s2, 0xb94c1982
	v_xor_b32_e32 v6, v6, v5
	s_load_b64 s[0:1], s[0:1], 0x18
	global_load_b32 v2, v[2:3], off
	v_mul_f32_e32 v3, v7, v7
	s_delay_alu instid0(VALU_DEP_1) | instskip(SKIP_1) | instid1(VALU_DEP_1)
	v_fmaak_f32 v9, s2, v3, 0x3c0881c4
	s_mov_b32 s2, 0x37d75334
	v_fmaak_f32 v9, v3, v9, 0xbe2aaa9d
	s_delay_alu instid0(VALU_DEP_1) | instskip(NEXT) | instid1(VALU_DEP_1)
	v_mul_f32_e32 v9, v3, v9
	v_fmac_f32_e32 v7, v7, v9
	v_and_b32_e32 v9, 1, v8
	v_lshlrev_b32_e32 v8, 30, v8
	v_fmaak_f32 v10, s2, v3, 0xbab64f3b
	s_delay_alu instid0(VALU_DEP_3) | instskip(NEXT) | instid1(VALU_DEP_2)
	v_cmp_eq_u32_e32 vcc_lo, 0, v9
	v_fmaak_f32 v10, v3, v10, 0x3d2aabf7
	s_delay_alu instid0(VALU_DEP_1) | instskip(NEXT) | instid1(VALU_DEP_1)
	v_fmaak_f32 v10, v3, v10, 0xbf000004
	v_fma_f32 v3, v3, v10, 1.0
	s_delay_alu instid0(VALU_DEP_1) | instskip(SKIP_2) | instid1(VALU_DEP_2)
	v_cndmask_b32_e32 v3, v3, v7, vcc_lo
	v_and_b32_e32 v7, 0x80000000, v8
	v_cmp_class_f32_e64 vcc_lo, v5, 0x1f8
	v_xor3_b32 v3, v6, v7, v3
	s_delay_alu instid0(VALU_DEP_1) | instskip(NEXT) | instid1(VALU_DEP_1)
	v_cndmask_b32_e32 v3, 0x7fc00000, v3, vcc_lo
	v_mul_f32_e32 v3, v3, v3
	s_waitcnt vmcnt(0)
	s_delay_alu instid0(VALU_DEP_1) | instskip(NEXT) | instid1(VALU_DEP_1)
	v_fmac_f32_e32 v4, v2, v3
	v_and_b32_e32 v2, 0x7f800000, v4
	s_delay_alu instid0(VALU_DEP_1) | instskip(SKIP_1) | instid1(SALU_CYCLE_1)
	v_cmp_ne_u32_e32 vcc_lo, 0x7f800000, v2
                                        ; implicit-def: $vgpr2
	s_and_saveexec_b32 s2, vcc_lo
	s_xor_b32 s2, exec_lo, s2
; %bb.6:
	v_bfe_u32 v2, v4, 16, 1
	s_delay_alu instid0(VALU_DEP_1)
	v_add3_u32 v2, v4, v2, 0x7fff
                                        ; implicit-def: $vgpr4
; %bb.7:
	s_and_not1_saveexec_b32 s2, s2
; %bb.8:
	v_and_b32_e32 v2, 0xffff, v4
	v_or_b32_e32 v3, 0x10000, v4
	s_delay_alu instid0(VALU_DEP_2) | instskip(NEXT) | instid1(VALU_DEP_2)
	v_cmp_eq_u32_e32 vcc_lo, 0, v2
	v_cndmask_b32_e32 v2, v3, v4, vcc_lo
; %bb.9:
	s_or_b32 exec_lo, exec_lo, s2
	s_waitcnt lgkmcnt(0)
	v_add_co_u32 v0, vcc_lo, s0, v0
	v_add_co_ci_u32_e32 v1, vcc_lo, s1, v1, vcc_lo
	global_store_d16_hi_b16 v[0:1], v2, off
.LBB2_10:
	s_nop 0
	s_sendmsg sendmsg(MSG_DEALLOC_VGPRS)
	s_endpgm
	.section	.rodata,"a",@progbits
	.p2align	6, 0x0
	.amdhsa_kernel _ZL12snake_kernelI14__hip_bfloat16EvPKT_PKfS5_PS1_i15HIP_vector_typeIjLj3EE
		.amdhsa_group_segment_fixed_size 0
		.amdhsa_private_segment_fixed_size 0
		.amdhsa_kernarg_size 304
		.amdhsa_user_sgpr_count 15
		.amdhsa_user_sgpr_dispatch_ptr 0
		.amdhsa_user_sgpr_queue_ptr 0
		.amdhsa_user_sgpr_kernarg_segment_ptr 1
		.amdhsa_user_sgpr_dispatch_id 0
		.amdhsa_user_sgpr_private_segment_size 0
		.amdhsa_wavefront_size32 1
		.amdhsa_uses_dynamic_stack 0
		.amdhsa_enable_private_segment 0
		.amdhsa_system_sgpr_workgroup_id_x 1
		.amdhsa_system_sgpr_workgroup_id_y 0
		.amdhsa_system_sgpr_workgroup_id_z 0
		.amdhsa_system_sgpr_workgroup_info 0
		.amdhsa_system_vgpr_workitem_id 0
		.amdhsa_next_free_vgpr 19
		.amdhsa_next_free_sgpr 16
		.amdhsa_reserve_vcc 1
		.amdhsa_float_round_mode_32 0
		.amdhsa_float_round_mode_16_64 0
		.amdhsa_float_denorm_mode_32 3
		.amdhsa_float_denorm_mode_16_64 3
		.amdhsa_dx10_clamp 1
		.amdhsa_ieee_mode 1
		.amdhsa_fp16_overflow 0
		.amdhsa_workgroup_processor_mode 1
		.amdhsa_memory_ordered 1
		.amdhsa_forward_progress 0
		.amdhsa_shared_vgpr_count 0
		.amdhsa_exception_fp_ieee_invalid_op 0
		.amdhsa_exception_fp_denorm_src 0
		.amdhsa_exception_fp_ieee_div_zero 0
		.amdhsa_exception_fp_ieee_overflow 0
		.amdhsa_exception_fp_ieee_underflow 0
		.amdhsa_exception_fp_ieee_inexact 0
		.amdhsa_exception_int_div_zero 0
	.end_amdhsa_kernel
	.section	.text._ZL12snake_kernelI14__hip_bfloat16EvPKT_PKfS5_PS1_i15HIP_vector_typeIjLj3EE,"axG",@progbits,_ZL12snake_kernelI14__hip_bfloat16EvPKT_PKfS5_PS1_i15HIP_vector_typeIjLj3EE,comdat
.Lfunc_end2:
	.size	_ZL12snake_kernelI14__hip_bfloat16EvPKT_PKfS5_PS1_i15HIP_vector_typeIjLj3EE, .Lfunc_end2-_ZL12snake_kernelI14__hip_bfloat16EvPKT_PKfS5_PS1_i15HIP_vector_typeIjLj3EE
                                        ; -- End function
	.section	.AMDGPU.csdata,"",@progbits
; Kernel info:
; codeLenInByte = 1328
; NumSgprs: 18
; NumVgprs: 19
; ScratchSize: 0
; MemoryBound: 0
; FloatMode: 240
; IeeeMode: 1
; LDSByteSize: 0 bytes/workgroup (compile time only)
; SGPRBlocks: 2
; VGPRBlocks: 2
; NumSGPRsForWavesPerEU: 18
; NumVGPRsForWavesPerEU: 19
; Occupancy: 16
; WaveLimiterHint : 0
; COMPUTE_PGM_RSRC2:SCRATCH_EN: 0
; COMPUTE_PGM_RSRC2:USER_SGPR: 15
; COMPUTE_PGM_RSRC2:TRAP_HANDLER: 0
; COMPUTE_PGM_RSRC2:TGID_X_EN: 1
; COMPUTE_PGM_RSRC2:TGID_Y_EN: 0
; COMPUTE_PGM_RSRC2:TGID_Z_EN: 0
; COMPUTE_PGM_RSRC2:TIDIG_COMP_CNT: 0
	.text
	.p2alignl 7, 3214868480
	.fill 96, 4, 3214868480
	.type	__hip_cuid_a91525d4bf46c314,@object ; @__hip_cuid_a91525d4bf46c314
	.section	.bss,"aw",@nobits
	.globl	__hip_cuid_a91525d4bf46c314
__hip_cuid_a91525d4bf46c314:
	.byte	0                               ; 0x0
	.size	__hip_cuid_a91525d4bf46c314, 1

	.ident	"AMD clang version 19.0.0git (https://github.com/RadeonOpenCompute/llvm-project roc-6.4.0 25133 c7fe45cf4b819c5991fe208aaa96edf142730f1d)"
	.section	".note.GNU-stack","",@progbits
	.addrsig
	.addrsig_sym __hip_cuid_a91525d4bf46c314
	.amdgpu_metadata
---
amdhsa.kernels:
  - .args:
      - .actual_access:  read_only
        .address_space:  global
        .offset:         0
        .size:           8
        .value_kind:     global_buffer
      - .actual_access:  read_only
        .address_space:  global
        .offset:         8
        .size:           8
        .value_kind:     global_buffer
      - .actual_access:  read_only
        .address_space:  global
        .offset:         16
        .size:           8
        .value_kind:     global_buffer
      - .actual_access:  write_only
        .address_space:  global
        .offset:         24
        .size:           8
        .value_kind:     global_buffer
      - .offset:         32
        .size:           4
        .value_kind:     by_value
      - .offset:         36
        .size:           12
        .value_kind:     by_value
      - .offset:         48
        .size:           4
        .value_kind:     hidden_block_count_x
      - .offset:         52
        .size:           4
        .value_kind:     hidden_block_count_y
      - .offset:         56
        .size:           4
        .value_kind:     hidden_block_count_z
      - .offset:         60
        .size:           2
        .value_kind:     hidden_group_size_x
      - .offset:         62
        .size:           2
        .value_kind:     hidden_group_size_y
      - .offset:         64
        .size:           2
        .value_kind:     hidden_group_size_z
      - .offset:         66
        .size:           2
        .value_kind:     hidden_remainder_x
      - .offset:         68
        .size:           2
        .value_kind:     hidden_remainder_y
      - .offset:         70
        .size:           2
        .value_kind:     hidden_remainder_z
      - .offset:         88
        .size:           8
        .value_kind:     hidden_global_offset_x
      - .offset:         96
        .size:           8
        .value_kind:     hidden_global_offset_y
      - .offset:         104
        .size:           8
        .value_kind:     hidden_global_offset_z
      - .offset:         112
        .size:           2
        .value_kind:     hidden_grid_dims
    .group_segment_fixed_size: 0
    .kernarg_segment_align: 8
    .kernarg_segment_size: 304
    .language:       OpenCL C
    .language_version:
      - 2
      - 0
    .max_flat_workgroup_size: 1024
    .name:           _ZL12snake_kernelIfEvPKT_PKfS4_PS0_i15HIP_vector_typeIjLj3EE
    .private_segment_fixed_size: 0
    .sgpr_count:     18
    .sgpr_spill_count: 0
    .symbol:         _ZL12snake_kernelIfEvPKT_PKfS4_PS0_i15HIP_vector_typeIjLj3EE.kd
    .uniform_work_group_size: 1
    .uses_dynamic_stack: false
    .vgpr_count:     19
    .vgpr_spill_count: 0
    .wavefront_size: 32
    .workgroup_processor_mode: 1
  - .args:
      - .actual_access:  read_only
        .address_space:  global
        .offset:         0
        .size:           8
        .value_kind:     global_buffer
      - .actual_access:  read_only
        .address_space:  global
        .offset:         8
        .size:           8
        .value_kind:     global_buffer
      - .actual_access:  read_only
        .address_space:  global
        .offset:         16
        .size:           8
        .value_kind:     global_buffer
      - .actual_access:  write_only
        .address_space:  global
        .offset:         24
        .size:           8
        .value_kind:     global_buffer
      - .offset:         32
        .size:           4
        .value_kind:     by_value
      - .offset:         36
        .size:           12
        .value_kind:     by_value
      - .offset:         48
        .size:           4
        .value_kind:     hidden_block_count_x
      - .offset:         52
        .size:           4
        .value_kind:     hidden_block_count_y
      - .offset:         56
        .size:           4
        .value_kind:     hidden_block_count_z
      - .offset:         60
        .size:           2
        .value_kind:     hidden_group_size_x
      - .offset:         62
        .size:           2
        .value_kind:     hidden_group_size_y
      - .offset:         64
        .size:           2
        .value_kind:     hidden_group_size_z
      - .offset:         66
        .size:           2
        .value_kind:     hidden_remainder_x
      - .offset:         68
        .size:           2
        .value_kind:     hidden_remainder_y
      - .offset:         70
        .size:           2
        .value_kind:     hidden_remainder_z
      - .offset:         88
        .size:           8
        .value_kind:     hidden_global_offset_x
      - .offset:         96
        .size:           8
        .value_kind:     hidden_global_offset_y
      - .offset:         104
        .size:           8
        .value_kind:     hidden_global_offset_z
      - .offset:         112
        .size:           2
        .value_kind:     hidden_grid_dims
    .group_segment_fixed_size: 0
    .kernarg_segment_align: 8
    .kernarg_segment_size: 304
    .language:       OpenCL C
    .language_version:
      - 2
      - 0
    .max_flat_workgroup_size: 1024
    .name:           _ZL12snake_kernelI6__halfEvPKT_PKfS5_PS1_i15HIP_vector_typeIjLj3EE
    .private_segment_fixed_size: 0
    .sgpr_count:     18
    .sgpr_spill_count: 0
    .symbol:         _ZL12snake_kernelI6__halfEvPKT_PKfS5_PS1_i15HIP_vector_typeIjLj3EE.kd
    .uniform_work_group_size: 1
    .uses_dynamic_stack: false
    .vgpr_count:     19
    .vgpr_spill_count: 0
    .wavefront_size: 32
    .workgroup_processor_mode: 1
  - .args:
      - .actual_access:  read_only
        .address_space:  global
        .offset:         0
        .size:           8
        .value_kind:     global_buffer
      - .actual_access:  read_only
        .address_space:  global
        .offset:         8
        .size:           8
        .value_kind:     global_buffer
      - .actual_access:  read_only
        .address_space:  global
        .offset:         16
        .size:           8
        .value_kind:     global_buffer
      - .actual_access:  write_only
        .address_space:  global
        .offset:         24
        .size:           8
        .value_kind:     global_buffer
      - .offset:         32
        .size:           4
        .value_kind:     by_value
      - .offset:         36
        .size:           12
        .value_kind:     by_value
      - .offset:         48
        .size:           4
        .value_kind:     hidden_block_count_x
      - .offset:         52
        .size:           4
        .value_kind:     hidden_block_count_y
      - .offset:         56
        .size:           4
        .value_kind:     hidden_block_count_z
      - .offset:         60
        .size:           2
        .value_kind:     hidden_group_size_x
      - .offset:         62
        .size:           2
        .value_kind:     hidden_group_size_y
      - .offset:         64
        .size:           2
        .value_kind:     hidden_group_size_z
      - .offset:         66
        .size:           2
        .value_kind:     hidden_remainder_x
      - .offset:         68
        .size:           2
        .value_kind:     hidden_remainder_y
      - .offset:         70
        .size:           2
        .value_kind:     hidden_remainder_z
      - .offset:         88
        .size:           8
        .value_kind:     hidden_global_offset_x
      - .offset:         96
        .size:           8
        .value_kind:     hidden_global_offset_y
      - .offset:         104
        .size:           8
        .value_kind:     hidden_global_offset_z
      - .offset:         112
        .size:           2
        .value_kind:     hidden_grid_dims
    .group_segment_fixed_size: 0
    .kernarg_segment_align: 8
    .kernarg_segment_size: 304
    .language:       OpenCL C
    .language_version:
      - 2
      - 0
    .max_flat_workgroup_size: 1024
    .name:           _ZL12snake_kernelI14__hip_bfloat16EvPKT_PKfS5_PS1_i15HIP_vector_typeIjLj3EE
    .private_segment_fixed_size: 0
    .sgpr_count:     18
    .sgpr_spill_count: 0
    .symbol:         _ZL12snake_kernelI14__hip_bfloat16EvPKT_PKfS5_PS1_i15HIP_vector_typeIjLj3EE.kd
    .uniform_work_group_size: 1
    .uses_dynamic_stack: false
    .vgpr_count:     19
    .vgpr_spill_count: 0
    .wavefront_size: 32
    .workgroup_processor_mode: 1
amdhsa.target:   amdgcn-amd-amdhsa--gfx1100
amdhsa.version:
  - 1
  - 2
...

	.end_amdgpu_metadata
